;; amdgpu-corpus repo=ROCm/rocFFT kind=compiled arch=gfx1030 opt=O3
	.text
	.amdgcn_target "amdgcn-amd-amdhsa--gfx1030"
	.amdhsa_code_object_version 6
	.protected	bluestein_single_fwd_len700_dim1_sp_op_CI_CI ; -- Begin function bluestein_single_fwd_len700_dim1_sp_op_CI_CI
	.globl	bluestein_single_fwd_len700_dim1_sp_op_CI_CI
	.p2align	8
	.type	bluestein_single_fwd_len700_dim1_sp_op_CI_CI,@function
bluestein_single_fwd_len700_dim1_sp_op_CI_CI: ; @bluestein_single_fwd_len700_dim1_sp_op_CI_CI
; %bb.0:
	s_load_dwordx4 s[0:3], s[4:5], 0x28
	v_mul_u32_u24_e32 v1, 0x290, v0
	v_mov_b32_e32 v57, 0
	v_lshrrev_b32_e32 v1, 16, v1
	v_add_nc_u32_e32 v56, s6, v1
	s_waitcnt lgkmcnt(0)
	v_cmp_gt_u64_e32 vcc_lo, s[0:1], v[56:57]
	s_and_saveexec_b32 s0, vcc_lo
	s_cbranch_execz .LBB0_23
; %bb.1:
	s_clause 0x1
	s_load_dwordx2 s[14:15], s[4:5], 0x0
	s_load_dwordx2 s[12:13], s[4:5], 0x38
	v_mul_lo_u16 v1, 0x64, v1
	v_sub_nc_u16 v0, v0, v1
	v_and_b32_e32 v60, 0xffff, v0
	v_cmp_gt_u16_e32 vcc_lo, 0x46, v0
	v_lshlrev_b32_e32 v59, 3, v60
	s_and_saveexec_b32 s1, vcc_lo
	s_cbranch_execz .LBB0_3
; %bb.2:
	s_load_dwordx2 s[6:7], s[4:5], 0x18
	s_waitcnt lgkmcnt(0)
	v_add_co_u32 v14, s0, s14, v59
	v_add_co_ci_u32_e64 v15, null, s15, 0, s0
	v_add_nc_u32_e32 v42, 0x800, v59
	s_load_dwordx4 s[8:11], s[6:7], 0x0
	s_waitcnt lgkmcnt(0)
	v_mad_u64_u32 v[0:1], null, s10, v56, 0
	v_mad_u64_u32 v[2:3], null, s8, v60, 0
	s_mul_i32 s6, s9, 0x230
	s_mul_hi_u32 s7, s8, 0x230
	s_add_i32 s7, s7, s6
	v_mad_u64_u32 v[4:5], null, s11, v56, v[1:2]
	v_mad_u64_u32 v[5:6], null, s9, v60, v[3:4]
	v_mov_b32_e32 v1, v4
	v_add_co_u32 v4, s0, 0x800, v14
	s_clause 0x3
	global_load_dwordx2 v[6:7], v59, s[14:15]
	global_load_dwordx2 v[8:9], v59, s[14:15] offset:560
	global_load_dwordx2 v[10:11], v59, s[14:15] offset:1120
	global_load_dwordx2 v[12:13], v59, s[14:15] offset:1680
	v_lshlrev_b64 v[0:1], 3, v[0:1]
	v_mov_b32_e32 v3, v5
	v_add_co_ci_u32_e64 v5, s0, 0, v15, s0
	s_clause 0x3
	global_load_dwordx2 v[18:19], v[4:5], off offset:192
	global_load_dwordx2 v[20:21], v[4:5], off offset:752
	;; [unrolled: 1-line block ×4, first 2 shown]
	v_lshlrev_b64 v[2:3], 3, v[2:3]
	v_add_co_u32 v0, s0, s2, v0
	v_add_co_ci_u32_e64 v1, s0, s3, v1, s0
	s_mul_i32 s2, s8, 0x230
	v_add_co_u32 v0, s0, v0, v2
	v_add_co_ci_u32_e64 v1, s0, v1, v3, s0
	v_add_co_u32 v2, s0, v0, s2
	v_add_co_ci_u32_e64 v3, s0, s7, v1, s0
	;; [unrolled: 2-line block ×4, first 2 shown]
	global_load_dwordx2 v[0:1], v[0:1], off
	v_add_co_u32 v24, s0, v16, s2
	v_add_co_ci_u32_e64 v25, s0, s7, v17, s0
	v_add_co_u32 v26, s0, v24, s2
	v_add_co_ci_u32_e64 v27, s0, s7, v25, s0
	s_clause 0x2
	global_load_dwordx2 v[2:3], v[2:3], off
	global_load_dwordx2 v[16:17], v[16:17], off
	;; [unrolled: 1-line block ×3, first 2 shown]
	v_add_co_u32 v28, s0, v26, s2
	v_add_co_ci_u32_e64 v29, s0, s7, v27, s0
	global_load_dwordx2 v[26:27], v[26:27], off
	v_add_co_u32 v30, s0, v28, s2
	v_add_co_ci_u32_e64 v31, s0, s7, v29, s0
	global_load_dwordx2 v[28:29], v[28:29], off
	;; [unrolled: 3-line block ×5, first 2 shown]
	s_clause 0x1
	global_load_dwordx2 v[38:39], v[14:15], off offset:384
	global_load_dwordx2 v[14:15], v[14:15], off offset:944
	global_load_dwordx2 v[36:37], v[36:37], off
	s_waitcnt vmcnt(11)
	v_mul_f32_e32 v40, v1, v7
	v_mul_f32_e32 v41, v0, v7
	v_fmac_f32_e32 v40, v0, v6
	v_fma_f32 v41, v1, v6, -v41
	s_waitcnt vmcnt(10)
	v_mul_f32_e32 v7, v3, v9
	v_mul_f32_e32 v9, v2, v9
	s_waitcnt vmcnt(9)
	v_mul_f32_e32 v0, v17, v11
	v_mul_f32_e32 v1, v16, v11
	v_fmac_f32_e32 v7, v2, v8
	v_fma_f32 v8, v3, v8, -v9
	s_waitcnt vmcnt(7)
	v_mul_f32_e32 v6, v26, v19
	v_fmac_f32_e32 v0, v16, v10
	v_mul_f32_e32 v2, v25, v13
	v_mul_f32_e32 v3, v24, v13
	;; [unrolled: 1-line block ×3, first 2 shown]
	v_fma_f32 v1, v17, v10, -v1
	v_fma_f32 v10, v27, v18, -v6
	s_waitcnt vmcnt(6)
	v_mul_f32_e32 v6, v28, v21
	v_mul_f32_e32 v11, v29, v21
	v_fmac_f32_e32 v2, v24, v12
	s_waitcnt vmcnt(5)
	v_mul_f32_e32 v13, v30, v23
	v_fma_f32 v3, v25, v12, -v3
	v_fmac_f32_e32 v9, v26, v18
	v_mul_f32_e32 v16, v31, v23
	v_fma_f32 v12, v29, v20, -v6
	s_waitcnt vmcnt(4)
	v_mul_f32_e32 v18, v33, v5
	v_mul_f32_e32 v6, v32, v5
	v_fmac_f32_e32 v11, v28, v20
	v_fma_f32 v17, v31, v22, -v13
	s_waitcnt vmcnt(2)
	v_mul_f32_e32 v5, v35, v39
	v_mul_f32_e32 v20, v34, v39
	s_waitcnt vmcnt(0)
	v_mul_f32_e32 v13, v37, v15
	v_mul_f32_e32 v15, v36, v15
	v_fmac_f32_e32 v16, v30, v22
	v_fmac_f32_e32 v18, v32, v4
	v_fma_f32 v19, v33, v4, -v6
	v_fmac_f32_e32 v5, v34, v38
	v_fma_f32 v6, v35, v38, -v20
	;; [unrolled: 2-line block ×3, first 2 shown]
	v_add_nc_u32_e32 v4, 0x1000, v59
	ds_write2_b64 v59, v[40:41], v[7:8] offset1:70
	ds_write2_b64 v59, v[0:1], v[2:3] offset0:140 offset1:210
	ds_write2_b64 v42, v[9:10], v[11:12] offset0:24 offset1:94
	;; [unrolled: 1-line block ×4, first 2 shown]
.LBB0_3:
	s_or_b32 exec_lo, exec_lo, s1
	s_clause 0x1
	s_load_dwordx2 s[2:3], s[4:5], 0x20
	s_load_dwordx2 s[0:1], s[4:5], 0x8
	s_waitcnt lgkmcnt(0)
	s_barrier
	buffer_gl0_inv
                                        ; implicit-def: $vgpr14
                                        ; implicit-def: $vgpr10
                                        ; implicit-def: $vgpr0
                                        ; implicit-def: $vgpr4
                                        ; implicit-def: $vgpr18
	s_and_saveexec_b32 s4, vcc_lo
	s_cbranch_execz .LBB0_5
; %bb.4:
	v_add_nc_u32_e32 v0, 0x800, v59
	v_add_nc_u32_e32 v4, 0x1000, v59
	ds_read2_b64 v[16:19], v59 offset1:70
	ds_read2_b64 v[12:15], v59 offset0:140 offset1:210
	ds_read2_b64 v[8:11], v0 offset0:24 offset1:94
	;; [unrolled: 1-line block ×4, first 2 shown]
.LBB0_5:
	s_or_b32 exec_lo, exec_lo, s4
	s_waitcnt lgkmcnt(0)
	v_add_f32_e32 v21, v4, v12
	v_sub_f32_e32 v32, v9, v1
	v_sub_f32_e32 v22, v12, v8
	;; [unrolled: 1-line block ×4, first 2 shown]
	v_fma_f32 v21, -0.5, v21, v16
	v_sub_f32_e32 v26, v0, v4
	v_add_f32_e32 v28, v1, v9
	v_add_f32_e32 v30, v10, v2
	v_sub_f32_e32 v27, v13, v5
	v_add_f32_e32 v33, v24, v22
	v_fmamk_f32 v22, v32, 0xbf737871, v21
	v_fmac_f32_e32 v21, 0x3f737871, v32
	v_add_f32_e32 v26, v26, v25
	v_fma_f32 v36, -0.5, v28, v17
	v_add_f32_e32 v25, v5, v13
	v_sub_f32_e32 v28, v13, v9
	v_sub_f32_e32 v29, v5, v1
	v_fma_f32 v40, -0.5, v30, v18
	v_sub_f32_e32 v30, v14, v10
	v_sub_f32_e32 v31, v6, v2
	v_fmac_f32_e32 v22, 0x3f167918, v27
	v_fmac_f32_e32 v21, 0xbf167918, v27
	v_sub_f32_e32 v38, v8, v0
	v_fma_f32 v25, -0.5, v25, v17
	v_add_f32_e32 v39, v29, v28
	v_sub_f32_e32 v28, v9, v13
	v_sub_f32_e32 v29, v1, v5
	v_add_f32_e32 v42, v30, v31
	v_add_f32_e32 v31, v15, v7
	v_sub_f32_e32 v34, v10, v14
	v_sub_f32_e32 v35, v2, v6
	;; [unrolled: 1-line block ×3, first 2 shown]
	v_fmac_f32_e32 v22, 0x3e9e377a, v26
	v_fmac_f32_e32 v21, 0x3e9e377a, v26
	v_fmamk_f32 v26, v38, 0x3f737871, v25
	v_fmac_f32_e32 v25, 0xbf737871, v38
	v_add_f32_e32 v28, v29, v28
	v_add_f32_e32 v29, v14, v6
	v_sub_f32_e32 v50, v10, v2
	v_fma_f32 v31, -0.5, v31, v19
	v_add_f32_e32 v34, v34, v35
	v_add_f32_e32 v35, v11, v3
	v_fmac_f32_e32 v26, 0xbf167918, v37
	v_fmac_f32_e32 v25, 0x3f167918, v37
	v_sub_f32_e32 v45, v15, v7
	v_sub_f32_e32 v44, v11, v3
	v_fma_f32 v29, -0.5, v29, v18
	v_sub_f32_e32 v53, v14, v6
	v_fmamk_f32 v48, v50, 0x3f737871, v31
	v_sub_f32_e32 v41, v11, v15
	v_sub_f32_e32 v43, v3, v7
	v_fma_f32 v51, -0.5, v35, v19
	v_add_f32_e32 v20, v0, v8
	v_fmac_f32_e32 v26, 0x3e9e377a, v28
	v_fmac_f32_e32 v25, 0x3e9e377a, v28
	v_fmamk_f32 v28, v45, 0xbf737871, v40
	v_fmamk_f32 v30, v44, 0xbf737871, v29
	v_fmac_f32_e32 v29, 0x3f737871, v44
	v_fmac_f32_e32 v48, 0xbf167918, v53
	v_add_f32_e32 v35, v41, v43
	v_sub_f32_e32 v41, v15, v11
	v_sub_f32_e32 v43, v7, v3
	v_fmamk_f32 v49, v53, 0x3f737871, v51
	v_fmac_f32_e32 v31, 0xbf737871, v50
	v_fma_f32 v23, -0.5, v20, v16
	v_fmac_f32_e32 v28, 0xbf167918, v44
	v_fmac_f32_e32 v30, 0x3f167918, v45
	;; [unrolled: 1-line block ×4, first 2 shown]
	v_add_f32_e32 v54, v41, v43
	v_fmac_f32_e32 v49, 0x3f167918, v50
	v_fmac_f32_e32 v31, 0x3f167918, v53
	v_fmamk_f32 v20, v27, 0xbf737871, v23
	v_fmamk_f32 v24, v37, 0x3f737871, v36
	v_fmac_f32_e32 v30, 0x3e9e377a, v34
	v_mul_f32_e32 v41, 0x3f737871, v48
	v_fmac_f32_e32 v29, 0x3e9e377a, v34
	v_fmac_f32_e32 v28, 0x3e9e377a, v42
	v_fmac_f32_e32 v49, 0x3e9e377a, v54
	v_fmac_f32_e32 v31, 0x3e9e377a, v35
	v_fmac_f32_e32 v20, 0xbf167918, v32
	v_fmac_f32_e32 v24, 0x3f167918, v38
	v_fmac_f32_e32 v41, 0x3e9e377a, v30
	v_mul_f32_e32 v34, 0x3e9e377a, v29
	v_mul_f32_e32 v35, 0x3f4f1bbd, v28
	;; [unrolled: 1-line block ×5, first 2 shown]
	v_fmac_f32_e32 v20, 0x3e9e377a, v33
	v_fmac_f32_e32 v24, 0x3e9e377a, v39
	v_fma_f32 v46, 0x3f737871, v31, -v34
	v_fma_f32 v43, 0x3f167918, v49, -v35
	v_fmac_f32_e32 v47, 0x3e9e377a, v48
	v_fma_f32 v48, 0xbf737871, v29, -v30
	v_fma_f32 v49, 0xbf167918, v28, -v52
	v_sub_f32_e32 v34, v22, v41
	v_sub_f32_e32 v28, v21, v46
	;; [unrolled: 1-line block ×6, first 2 shown]
	v_mul_lo_u16 v52, v60, 10
	s_barrier
	buffer_gl0_inv
	s_and_saveexec_b32 s4, vcc_lo
	s_cbranch_execz .LBB0_7
; %bb.6:
	v_mul_f32_e32 v45, 0x3f737871, v45
	v_mul_f32_e32 v37, 0x3f737871, v37
	;; [unrolled: 1-line block ×5, first 2 shown]
	v_add_f32_e32 v40, v45, v40
	v_mul_f32_e32 v45, 0x3f167918, v50
	v_sub_f32_e32 v36, v36, v37
	v_sub_f32_e32 v37, v51, v53
	v_add_f32_e32 v13, v13, v17
	v_add_f32_e32 v40, v44, v40
	v_mul_f32_e32 v27, 0x3f737871, v27
	v_mul_f32_e32 v38, 0x3f167918, v38
	;; [unrolled: 1-line block ×3, first 2 shown]
	v_sub_f32_e32 v37, v37, v45
	v_add_f32_e32 v40, v42, v40
	v_add_f32_e32 v15, v15, v19
	;; [unrolled: 1-line block ×5, first 2 shown]
	v_mul_f32_e32 v32, 0x3f167918, v32
	v_mul_f32_e32 v39, 0x3e9e377a, v39
	v_sub_f32_e32 v36, v36, v38
	v_mul_f32_e32 v38, 0x3e9e377a, v33
	v_add_f32_e32 v33, v44, v37
	v_mul_f32_e32 v19, 0x3f167918, v40
	v_add_f32_e32 v11, v11, v15
	v_add_f32_e32 v1, v1, v9
	;; [unrolled: 1-line block ×6, first 2 shown]
	v_fma_f32 v14, 0x3f4f1bbd, v33, -v19
	v_add_f32_e32 v3, v3, v11
	v_add_f32_e32 v12, v5, v1
	;; [unrolled: 1-line block ×5, first 2 shown]
	v_mul_f32_e32 v13, 0x3f167918, v33
	v_add_f32_e32 v8, v7, v3
	v_add_f32_e32 v0, v4, v0
	;; [unrolled: 1-line block ×3, first 2 shown]
	v_sub_f32_e32 v33, v17, v14
	v_add_f32_e32 v15, v38, v2
	v_fmac_f32_e32 v13, 0x3f4f1bbd, v40
	v_add_f32_e32 v11, v17, v14
	v_mov_b32_e32 v14, 3
	v_sub_f32_e32 v3, v12, v8
	v_add_f32_e32 v9, v8, v12
	v_add_f32_e32 v10, v15, v13
	;; [unrolled: 1-line block ×3, first 2 shown]
	v_lshlrev_b32_sdwa v12, v14, v52 dst_sel:DWORD dst_unused:UNUSED_PAD src0_sel:DWORD src1_sel:WORD_0
	v_sub_f32_e32 v2, v0, v4
	v_add_f32_e32 v7, v25, v48
	v_add_f32_e32 v5, v26, v47
	;; [unrolled: 1-line block ×6, first 2 shown]
	v_sub_f32_e32 v32, v15, v13
	ds_write_b128 v12, v[8:11]
	ds_write_b128 v12, v[4:7] offset:16
	ds_write_b128 v12, v[0:3] offset:32
	;; [unrolled: 1-line block ×4, first 2 shown]
.LBB0_7:
	s_or_b32 exec_lo, exec_lo, s4
	v_and_b32_e32 v0, 0xff, v60
	s_load_dwordx4 s[4:7], s[2:3], 0x0
	s_waitcnt lgkmcnt(0)
	s_barrier
	buffer_gl0_inv
	v_mul_lo_u16 v0, 0xcd, v0
	v_add_nc_u32_e32 v17, 0x400, v59
	v_add_nc_u32_e32 v12, 0x800, v59
	v_mov_b32_e32 v33, 0x46
	v_lshrrev_b16 v27, 11, v0
	v_mul_lo_u16 v0, v27, 10
	v_mul_u32_u24_sdwa v27, v27, v33 dst_sel:DWORD dst_unused:UNUSED_PAD src0_sel:WORD_0 src1_sel:DWORD
	v_sub_nc_u16 v0, v60, v0
	v_and_b32_e32 v32, 0xff, v0
	v_mul_u32_u24_e32 v0, 6, v32
	v_add_lshl_u32 v61, v27, v32, 3
	v_lshlrev_b32_e32 v0, 3, v0
	s_clause 0x2
	global_load_dwordx4 v[8:11], v0, s[0:1]
	global_load_dwordx4 v[4:7], v0, s[0:1] offset:16
	global_load_dwordx4 v[0:3], v0, s[0:1] offset:32
	ds_read2_b64 v[13:16], v59 offset1:100
	ds_read2_b64 v[17:20], v17 offset0:72 offset1:172
	ds_read2_b64 v[21:24], v12 offset0:144 offset1:244
	ds_read_b64 v[25:26], v59 offset:4800
	s_waitcnt vmcnt(0) lgkmcnt(0)
	s_barrier
	buffer_gl0_inv
	v_mul_f32_e32 v27, v16, v9
	v_mul_f32_e32 v32, v15, v9
	;; [unrolled: 1-line block ×12, first 2 shown]
	v_fma_f32 v15, v15, v8, -v27
	v_fmac_f32_e32 v32, v16, v8
	v_fma_f32 v16, v17, v10, -v33
	v_fmac_f32_e32 v36, v18, v10
	;; [unrolled: 2-line block ×6, first 2 shown]
	v_add_f32_e32 v21, v15, v19
	v_add_f32_e32 v22, v32, v44
	;; [unrolled: 1-line block ×4, first 2 shown]
	v_sub_f32_e32 v15, v15, v19
	v_sub_f32_e32 v19, v32, v44
	;; [unrolled: 1-line block ×4, first 2 shown]
	v_add_f32_e32 v25, v17, v18
	v_add_f32_e32 v26, v38, v40
	v_sub_f32_e32 v17, v18, v17
	v_sub_f32_e32 v18, v40, v38
	v_add_f32_e32 v27, v23, v21
	v_add_f32_e32 v32, v24, v22
	v_sub_f32_e32 v33, v23, v21
	v_sub_f32_e32 v38, v24, v22
	;; [unrolled: 1-line block ×6, first 2 shown]
	v_add_f32_e32 v36, v17, v16
	v_add_f32_e32 v37, v18, v20
	v_sub_f32_e32 v39, v17, v16
	v_sub_f32_e32 v40, v18, v20
	v_sub_f32_e32 v16, v16, v15
	v_sub_f32_e32 v20, v20, v19
	v_add_f32_e32 v25, v25, v27
	v_add_f32_e32 v26, v26, v32
	v_sub_f32_e32 v17, v15, v17
	v_sub_f32_e32 v18, v19, v18
	v_add_f32_e32 v15, v36, v15
	v_add_f32_e32 v19, v37, v19
	v_mul_f32_e32 v21, 0x3f4a47b2, v21
	v_mul_f32_e32 v22, 0x3f4a47b2, v22
	;; [unrolled: 1-line block ×8, first 2 shown]
	v_add_f32_e32 v36, v13, v25
	v_add_f32_e32 v37, v14, v26
	v_fmamk_f32 v13, v23, 0x3d64c772, v21
	v_fmamk_f32 v14, v24, 0x3d64c772, v22
	v_fma_f32 v23, 0x3f3bfb3b, v33, -v27
	v_fma_f32 v24, 0x3f3bfb3b, v38, -v32
	;; [unrolled: 1-line block ×4, first 2 shown]
	v_fmamk_f32 v27, v17, 0x3eae86e6, v39
	v_fmamk_f32 v32, v18, 0x3eae86e6, v40
	v_fma_f32 v16, 0x3f5ff5aa, v16, -v39
	v_fma_f32 v20, 0x3f5ff5aa, v20, -v40
	;; [unrolled: 1-line block ×4, first 2 shown]
	v_fmamk_f32 v25, v25, 0xbf955555, v36
	v_fmamk_f32 v26, v26, 0xbf955555, v37
	v_fmac_f32_e32 v27, 0x3ee1c552, v15
	v_fmac_f32_e32 v32, 0x3ee1c552, v19
	;; [unrolled: 1-line block ×6, first 2 shown]
	v_add_f32_e32 v13, v13, v25
	v_add_f32_e32 v14, v14, v26
	;; [unrolled: 1-line block ×7, first 2 shown]
	v_sub_f32_e32 v39, v14, v27
	v_add_f32_e32 v40, v18, v19
	v_sub_f32_e32 v41, v21, v17
	v_sub_f32_e32 v42, v15, v20
	v_add_f32_e32 v43, v16, v22
	v_add_f32_e32 v44, v20, v15
	v_sub_f32_e32 v45, v22, v16
	v_sub_f32_e32 v46, v19, v18
	v_add_f32_e32 v47, v17, v21
	v_sub_f32_e32 v32, v13, v32
	v_add_f32_e32 v33, v27, v14
	ds_write2_b64 v61, v[36:37], v[38:39] offset1:10
	ds_write2_b64 v61, v[40:41], v[42:43] offset0:20 offset1:30
	ds_write2_b64 v61, v[44:45], v[46:47] offset0:40 offset1:50
	ds_write_b64 v61, v[32:33] offset:480
	s_waitcnt lgkmcnt(0)
	s_barrier
	buffer_gl0_inv
	s_and_saveexec_b32 s2, vcc_lo
	s_cbranch_execz .LBB0_9
; %bb.8:
	v_add_nc_u32_e32 v13, 0x1000, v59
	ds_read2_b64 v[36:39], v59 offset1:70
	ds_read2_b64 v[40:43], v59 offset0:140 offset1:210
	ds_read2_b64 v[44:47], v12 offset0:24 offset1:94
	;; [unrolled: 1-line block ×4, first 2 shown]
.LBB0_9:
	s_or_b32 exec_lo, exec_lo, s2
	v_add_nc_u32_e32 v12, 0xffffffba, v60
	v_cndmask_b32_e32 v12, v12, v60, vcc_lo
	v_mul_i32_i24_e32 v13, 0x48, v12
	v_mul_hi_i32_i24_e32 v12, 0x48, v12
	v_add_co_u32 v48, s0, s0, v13
	v_add_co_ci_u32_e64 v49, s0, s1, v12, s0
	s_clause 0x4
	global_load_dwordx4 v[16:19], v[48:49], off offset:480
	global_load_dwordx4 v[12:15], v[48:49], off offset:496
	;; [unrolled: 1-line block ×4, first 2 shown]
	global_load_dwordx2 v[57:58], v[48:49], off offset:544
	s_waitcnt vmcnt(4) lgkmcnt(4)
	v_mul_f32_e32 v48, v39, v17
	v_mul_f32_e32 v49, v38, v17
	s_waitcnt lgkmcnt(3)
	v_mul_f32_e32 v50, v41, v19
	v_mul_f32_e32 v51, v40, v19
	s_waitcnt vmcnt(3)
	v_mul_f32_e32 v53, v43, v13
	v_mul_f32_e32 v54, v42, v13
	s_waitcnt lgkmcnt(2)
	v_mul_f32_e32 v55, v45, v15
	v_mul_f32_e32 v62, v44, v15
	s_waitcnt vmcnt(2)
	;; [unrolled: 6-line block ×4, first 2 shown]
	v_mul_f32_e32 v71, v31, v58
	v_mul_f32_e32 v72, v30, v58
	v_fma_f32 v38, v38, v16, -v48
	v_fmac_f32_e32 v49, v39, v16
	v_fma_f32 v39, v40, v18, -v50
	v_fmac_f32_e32 v51, v41, v18
	;; [unrolled: 2-line block ×9, first 2 shown]
	v_add_f32_e32 v30, v36, v39
	v_add_f32_e32 v31, v41, v32
	v_sub_f32_e32 v43, v39, v41
	v_sub_f32_e32 v44, v28, v32
	v_add_f32_e32 v45, v39, v28
	v_add_f32_e32 v48, v37, v51
	;; [unrolled: 1-line block ×3, first 2 shown]
	v_sub_f32_e32 v55, v51, v62
	v_sub_f32_e32 v63, v70, v66
	v_add_f32_e32 v69, v38, v40
	v_add_f32_e32 v71, v42, v33
	;; [unrolled: 1-line block ×6, first 2 shown]
	v_sub_f32_e32 v34, v51, v70
	v_sub_f32_e32 v35, v62, v66
	;; [unrolled: 1-line block ×4, first 2 shown]
	v_add_f32_e32 v65, v51, v70
	v_sub_f32_e32 v51, v62, v51
	v_sub_f32_e32 v73, v54, v72
	;; [unrolled: 1-line block ×7, first 2 shown]
	v_add_f32_e32 v30, v30, v41
	v_add_f32_e32 v41, v43, v44
	v_fma_f32 v43, -0.5, v31, v36
	v_fmac_f32_e32 v36, -0.5, v45
	v_add_f32_e32 v44, v48, v62
	v_add_f32_e32 v45, v55, v63
	v_fma_f32 v48, -0.5, v50, v37
	v_fma_f32 v50, -0.5, v71, v38
	v_fmac_f32_e32 v38, -0.5, v77
	v_add_f32_e32 v55, v80, v64
	v_add_f32_e32 v42, v69, v42
	v_fma_f32 v62, -0.5, v81, v49
	v_fmac_f32_e32 v49, -0.5, v84
	v_sub_f32_e32 v47, v32, v28
	v_sub_f32_e32 v67, v66, v70
	v_sub_f32_e32 v76, v29, v33
	v_sub_f32_e32 v79, v33, v29
	v_sub_f32_e32 v82, v54, v64
	v_sub_f32_e32 v83, v72, v68
	v_sub_f32_e32 v54, v64, v54
	v_sub_f32_e32 v85, v68, v72
	v_add_f32_e32 v30, v30, v32
	v_add_f32_e32 v32, v44, v66
	;; [unrolled: 1-line block ×3, first 2 shown]
	v_fmamk_f32 v42, v73, 0x3f737871, v50
	v_fmac_f32_e32 v50, 0xbf737871, v73
	v_fmamk_f32 v44, v74, 0xbf737871, v38
	v_fmac_f32_e32 v38, 0x3f737871, v74
	v_add_f32_e32 v55, v55, v68
	v_fmamk_f32 v68, v40, 0xbf737871, v62
	v_fmac_f32_e32 v62, 0x3f737871, v40
	v_fmamk_f32 v69, v86, 0x3f737871, v49
	v_fmac_f32_e32 v49, 0xbf737871, v86
	v_sub_f32_e32 v39, v39, v28
	v_add_f32_e32 v31, v46, v47
	v_fmac_f32_e32 v37, -0.5, v65
	v_add_f32_e32 v46, v51, v67
	v_add_f32_e32 v47, v75, v76
	;; [unrolled: 1-line block ×5, first 2 shown]
	v_fmamk_f32 v64, v34, 0x3f737871, v43
	v_fmac_f32_e32 v43, 0xbf737871, v34
	v_fmamk_f32 v65, v35, 0xbf737871, v36
	v_fmac_f32_e32 v36, 0x3f737871, v35
	v_fmac_f32_e32 v42, 0x3f167918, v74
	;; [unrolled: 1-line block ×9, first 2 shown]
	v_fmamk_f32 v66, v39, 0xbf737871, v48
	v_fmac_f32_e32 v48, 0x3f737871, v39
	v_fmamk_f32 v67, v53, 0x3f737871, v37
	v_fmac_f32_e32 v37, 0xbf737871, v53
	v_add_f32_e32 v30, v30, v28
	v_fmac_f32_e32 v64, 0x3f167918, v35
	v_fmac_f32_e32 v43, 0xbf167918, v35
	;; [unrolled: 1-line block ×4, first 2 shown]
	v_add_f32_e32 v32, v32, v70
	v_add_f32_e32 v33, v33, v29
	;; [unrolled: 1-line block ×3, first 2 shown]
	v_fmac_f32_e32 v42, 0x3e9e377a, v47
	v_fmac_f32_e32 v50, 0x3e9e377a, v47
	;; [unrolled: 1-line block ×16, first 2 shown]
	v_add_f32_e32 v28, v30, v33
	v_add_f32_e32 v29, v32, v35
	v_sub_f32_e32 v34, v30, v33
	v_sub_f32_e32 v35, v32, v35
	v_mul_f32_e32 v39, 0x3f167918, v68
	v_mul_f32_e32 v41, 0x3f737871, v69
	;; [unrolled: 1-line block ×8, first 2 shown]
	v_fmac_f32_e32 v66, 0x3e9e377a, v45
	v_fmac_f32_e32 v48, 0x3e9e377a, v45
	;; [unrolled: 1-line block ×6, first 2 shown]
	v_fma_f32 v49, 0x3f737871, v49, -v30
	v_fma_f32 v54, 0x3f167918, v62, -v31
	v_fmac_f32_e32 v51, 0x3f4f1bbd, v68
	v_fmac_f32_e32 v53, 0x3e9e377a, v69
	v_fma_f32 v55, 0xbf737871, v38, -v32
	v_fma_f32 v50, 0xbf167918, v50, -v33
	v_add_f32_e32 v30, v64, v39
	v_add_f32_e32 v44, v65, v41
	;; [unrolled: 1-line block ×8, first 2 shown]
	v_sub_f32_e32 v40, v64, v39
	v_sub_f32_e32 v42, v65, v41
	v_sub_f32_e32 v36, v36, v49
	v_sub_f32_e32 v38, v43, v54
	v_sub_f32_e32 v41, v66, v51
	v_sub_f32_e32 v43, v67, v53
	v_sub_f32_e32 v37, v37, v55
	v_sub_f32_e32 v39, v48, v50
	s_and_saveexec_b32 s0, vcc_lo
	s_cbranch_execz .LBB0_11
; %bb.10:
	v_add_nc_u32_e32 v48, 0x800, v59
	v_add_nc_u32_e32 v49, 0x1000, v59
	ds_write2_b64 v59, v[28:29], v[30:31] offset1:70
	ds_write2_b64 v59, v[44:45], v[46:47] offset0:140 offset1:210
	ds_write2_b64 v48, v[32:33], v[34:35] offset0:24 offset1:94
	;; [unrolled: 1-line block ×4, first 2 shown]
.LBB0_11:
	s_or_b32 exec_lo, exec_lo, s0
	s_waitcnt lgkmcnt(0)
	s_barrier
	buffer_gl0_inv
	s_and_saveexec_b32 s2, vcc_lo
	s_cbranch_execz .LBB0_13
; %bb.12:
	v_add_co_u32 v55, s0, s14, v59
	v_add_co_ci_u32_e64 v64, null, s15, 0, s0
	v_add_nc_u32_e32 v94, 0x400, v59
	v_add_co_u32 v48, s0, 0x1000, v55
	v_add_co_ci_u32_e64 v49, s0, 0, v64, s0
	v_add_co_u32 v50, s0, 0x2800, v55
	v_add_co_ci_u32_e64 v51, s0, 0, v64, s0
	global_load_dwordx2 v[48:49], v[48:49], off offset:1504
	v_add_co_u32 v53, s0, 0x15e0, v55
	global_load_dwordx2 v[74:75], v[50:51], off offset:400
	v_add_co_ci_u32_e64 v54, s0, 0, v64, s0
	v_add_co_u32 v62, s1, 0x1800, v55
	v_add_co_u32 v50, s0, 0x2000, v55
	v_add_co_ci_u32_e64 v63, s1, 0, v64, s1
	s_clause 0x1
	global_load_dwordx2 v[76:77], v[53:54], off offset:560
	global_load_dwordx2 v[78:79], v[53:54], off offset:1120
	v_add_co_ci_u32_e64 v51, s0, 0, v64, s0
	s_clause 0x5
	global_load_dwordx2 v[53:54], v[53:54], off offset:1680
	global_load_dwordx2 v[80:81], v[62:63], off offset:1696
	;; [unrolled: 1-line block ×6, first 2 shown]
	ds_read_b64 v[50:51], v59
	ds_read_b64 v[90:91], v59 offset:5040
	v_add_nc_u32_e32 v95, 0x800, v59
	v_add_nc_u32_e32 v96, 0xc00, v59
	s_waitcnt vmcnt(9) lgkmcnt(1)
	v_mul_f32_e32 v55, v51, v49
	v_mul_f32_e32 v63, v50, v49
	s_waitcnt vmcnt(8) lgkmcnt(0)
	v_mul_f32_e32 v93, v90, v75
	v_fma_f32 v62, v50, v48, -v55
	v_fmac_f32_e32 v63, v51, v48
	v_mul_f32_e32 v55, v91, v75
	v_fmac_f32_e32 v93, v91, v74
	ds_write_b64 v59, v[62:63]
	ds_read2_b64 v[48:51], v59 offset0:70 offset1:140
	ds_read2_b64 v[62:65], v94 offset0:82 offset1:152
	;; [unrolled: 1-line block ×4, first 2 shown]
	v_fma_f32 v92, v90, v74, -v55
	s_waitcnt vmcnt(7) lgkmcnt(3)
	v_mul_f32_e32 v75, v49, v77
	v_mul_f32_e32 v55, v48, v77
	s_waitcnt vmcnt(6)
	v_mul_f32_e32 v97, v51, v79
	v_mul_f32_e32 v77, v50, v79
	s_waitcnt vmcnt(5) lgkmcnt(2)
	v_mul_f32_e32 v98, v63, v54
	v_mul_f32_e32 v79, v62, v54
	s_waitcnt vmcnt(4)
	v_mul_f32_e32 v99, v65, v81
	v_mul_f32_e32 v90, v64, v81
	s_waitcnt vmcnt(3) lgkmcnt(1)
	v_mul_f32_e32 v100, v67, v83
	v_mul_f32_e32 v81, v66, v83
	s_waitcnt vmcnt(2)
	v_mul_f32_e32 v101, v69, v85
	v_mul_f32_e32 v83, v68, v85
	s_waitcnt vmcnt(1) lgkmcnt(0)
	v_mul_f32_e32 v102, v71, v87
	v_mul_f32_e32 v85, v70, v87
	s_waitcnt vmcnt(0)
	v_mul_f32_e32 v103, v73, v89
	v_mul_f32_e32 v87, v72, v89
	v_fma_f32 v54, v48, v76, -v75
	v_fmac_f32_e32 v55, v49, v76
	v_fma_f32 v76, v50, v78, -v97
	v_fmac_f32_e32 v77, v51, v78
	;; [unrolled: 2-line block ×8, first 2 shown]
	ds_write2_b64 v59, v[54:55], v[76:77] offset0:70 offset1:140
	ds_write2_b64 v94, v[78:79], v[89:90] offset0:82 offset1:152
	;; [unrolled: 1-line block ×4, first 2 shown]
	ds_write_b64 v59, v[92:93] offset:5040
.LBB0_13:
	s_or_b32 exec_lo, exec_lo, s2
	s_waitcnt lgkmcnt(0)
	s_barrier
	buffer_gl0_inv
	s_and_saveexec_b32 s0, vcc_lo
	s_cbranch_execz .LBB0_15
; %bb.14:
	v_add_nc_u32_e32 v36, 0x800, v59
	v_add_nc_u32_e32 v37, 0x1000, v59
	ds_read2_b64 v[28:31], v59 offset1:70
	ds_read2_b64 v[44:47], v59 offset0:140 offset1:210
	ds_read2_b64 v[32:35], v36 offset0:24 offset1:94
	;; [unrolled: 1-line block ×4, first 2 shown]
.LBB0_15:
	s_or_b32 exec_lo, exec_lo, s0
	s_waitcnt lgkmcnt(1)
	v_add_f32_e32 v48, v40, v32
	s_waitcnt lgkmcnt(0)
	v_add_f32_e32 v49, v36, v44
	v_sub_f32_e32 v50, v44, v32
	v_sub_f32_e32 v51, v32, v44
	v_sub_f32_e32 v69, v33, v41
	v_fma_f32 v53, -0.5, v48, v28
	v_sub_f32_e32 v48, v36, v40
	v_fma_f32 v63, -0.5, v49, v28
	v_sub_f32_e32 v49, v40, v36
	v_sub_f32_e32 v68, v45, v37
	v_add_f32_e32 v54, v41, v33
	v_add_f32_e32 v70, v48, v50
	v_sub_f32_e32 v50, v45, v33
	v_add_f32_e32 v48, v49, v51
	v_sub_f32_e32 v51, v37, v41
	v_fmamk_f32 v64, v69, 0x3f737871, v63
	v_fmac_f32_e32 v63, 0xbf737871, v69
	v_fma_f32 v71, -0.5, v54, v29
	v_add_f32_e32 v49, v37, v45
	v_add_f32_e32 v74, v51, v50
	;; [unrolled: 1-line block ×3, first 2 shown]
	v_fmac_f32_e32 v64, 0xbf167918, v68
	v_fmac_f32_e32 v63, 0x3f167918, v68
	v_sub_f32_e32 v51, v38, v42
	v_sub_f32_e32 v54, v34, v46
	v_fma_f32 v75, -0.5, v50, v30
	v_sub_f32_e32 v50, v46, v34
	v_sub_f32_e32 v55, v42, v38
	;; [unrolled: 1-line block ×3, first 2 shown]
	v_fma_f32 v66, -0.5, v49, v29
	v_fmac_f32_e32 v64, 0x3e9e377a, v48
	v_fmac_f32_e32 v63, 0x3e9e377a, v48
	v_sub_f32_e32 v48, v33, v45
	v_sub_f32_e32 v49, v41, v37
	v_add_f32_e32 v77, v50, v51
	v_add_f32_e32 v51, v47, v39
	;; [unrolled: 1-line block ×4, first 2 shown]
	v_sub_f32_e32 v72, v44, v36
	v_fmamk_f32 v67, v73, 0xbf737871, v66
	v_fmac_f32_e32 v66, 0x3f737871, v73
	v_add_f32_e32 v48, v49, v48
	v_add_f32_e32 v49, v46, v38
	v_sub_f32_e32 v85, v34, v42
	v_fma_f32 v51, -0.5, v51, v31
	v_sub_f32_e32 v87, v46, v38
	v_fma_f32 v86, -0.5, v55, v31
	v_fmac_f32_e32 v67, 0x3f167918, v72
	v_fmac_f32_e32 v66, 0xbf167918, v72
	v_sub_f32_e32 v81, v47, v39
	v_sub_f32_e32 v78, v35, v43
	v_fma_f32 v49, -0.5, v49, v30
	v_fmamk_f32 v82, v85, 0xbf737871, v51
	v_sub_f32_e32 v76, v35, v47
	v_sub_f32_e32 v79, v43, v39
	;; [unrolled: 1-line block ×4, first 2 shown]
	v_fmac_f32_e32 v51, 0x3f737871, v85
	v_fmamk_f32 v84, v87, 0xbf737871, v86
	v_fmac_f32_e32 v67, 0x3e9e377a, v48
	v_fmac_f32_e32 v66, 0x3e9e377a, v48
	v_fmamk_f32 v48, v81, 0x3f737871, v75
	v_fmamk_f32 v50, v78, 0x3f737871, v49
	v_fmac_f32_e32 v82, 0x3f167918, v87
	v_add_f32_e32 v79, v76, v79
	v_fmac_f32_e32 v49, 0xbf737871, v78
	v_add_f32_e32 v88, v55, v80
	v_fmac_f32_e32 v51, 0xbf167918, v87
	v_fmac_f32_e32 v84, 0xbf167918, v85
	v_fmamk_f32 v62, v68, 0x3f737871, v53
	v_fmamk_f32 v65, v72, 0xbf737871, v71
	v_fmac_f32_e32 v48, 0x3f167918, v78
	v_fmac_f32_e32 v50, 0xbf167918, v81
	;; [unrolled: 1-line block ×9, first 2 shown]
	v_mul_f32_e32 v76, 0xbf737871, v82
	v_fmac_f32_e32 v48, 0x3e9e377a, v77
	v_fmac_f32_e32 v49, 0x3e9e377a, v54
	v_mul_f32_e32 v80, 0xbf737871, v51
	v_mul_f32_e32 v79, 0xbf167918, v84
	;; [unrolled: 1-line block ×5, first 2 shown]
	v_fmac_f32_e32 v62, 0x3e9e377a, v70
	v_fmac_f32_e32 v65, 0x3e9e377a, v74
	;; [unrolled: 1-line block ×8, first 2 shown]
	v_sub_f32_e32 v54, v64, v76
	v_sub_f32_e32 v48, v63, v80
	v_sub_f32_e32 v50, v62, v79
	v_sub_f32_e32 v55, v67, v82
	v_sub_f32_e32 v49, v66, v83
	v_sub_f32_e32 v51, v65, v84
	s_barrier
	buffer_gl0_inv
	s_and_saveexec_b32 s0, vcc_lo
	s_cbranch_execz .LBB0_17
; %bb.16:
	v_mul_f32_e32 v87, 0x3f737871, v87
	v_mul_f32_e32 v72, 0x3f737871, v72
	;; [unrolled: 1-line block ×4, first 2 shown]
	v_add_f32_e32 v29, v45, v29
	v_add_f32_e32 v86, v87, v86
	v_mul_f32_e32 v68, 0x3f737871, v68
	v_mul_f32_e32 v73, 0x3f167918, v73
	;; [unrolled: 1-line block ×3, first 2 shown]
	v_add_f32_e32 v71, v72, v71
	v_sub_f32_e32 v72, v75, v81
	v_mul_f32_e32 v75, 0x3e9e377a, v88
	v_add_f32_e32 v81, v85, v86
	v_add_f32_e32 v31, v47, v31
	;; [unrolled: 1-line block ×5, first 2 shown]
	v_mul_f32_e32 v69, 0x3f167918, v69
	v_mul_f32_e32 v74, 0x3e9e377a, v74
	;; [unrolled: 1-line block ×3, first 2 shown]
	v_add_f32_e32 v71, v73, v71
	v_sub_f32_e32 v72, v72, v78
	v_add_f32_e32 v73, v75, v81
	v_add_f32_e32 v31, v35, v31
	;; [unrolled: 1-line block ×5, first 2 shown]
	v_sub_f32_e32 v32, v53, v68
	v_mul_f32_e32 v70, 0x3e9e377a, v70
	v_add_f32_e32 v45, v74, v71
	v_add_f32_e32 v71, v77, v72
	v_mul_f32_e32 v47, 0x3f4f1bbd, v73
	v_add_f32_e32 v31, v43, v31
	v_add_f32_e32 v34, v37, v29
	;; [unrolled: 1-line block ×4, first 2 shown]
	v_sub_f32_e32 v30, v32, v69
	v_mul_f32_e32 v32, 0x3f167918, v73
	v_fmac_f32_e32 v47, 0x3f167918, v71
	v_add_f32_e32 v37, v39, v31
	v_add_f32_e32 v28, v36, v28
	;; [unrolled: 1-line block ×4, first 2 shown]
	v_fma_f32 v41, 0x3f4f1bbd, v71, -v32
	v_mov_b32_e32 v32, 3
	v_sub_f32_e32 v31, v34, v37
	v_sub_f32_e32 v30, v28, v36
	v_add_f32_e32 v39, v45, v47
	v_add_f32_e32 v37, v37, v34
	;; [unrolled: 1-line block ×4, first 2 shown]
	v_lshlrev_b32_sdwa v42, v32, v52 dst_sel:DWORD dst_unused:UNUSED_PAD src0_sel:DWORD src1_sel:WORD_0
	v_add_f32_e32 v35, v66, v83
	v_add_f32_e32 v33, v67, v82
	;; [unrolled: 1-line block ×6, first 2 shown]
	v_sub_f32_e32 v53, v45, v47
	v_sub_f32_e32 v52, v40, v41
	ds_write_b128 v42, v[36:39]
	ds_write_b128 v42, v[32:35] offset:16
	ds_write_b128 v42, v[28:31] offset:32
	;; [unrolled: 1-line block ×4, first 2 shown]
.LBB0_17:
	s_or_b32 exec_lo, exec_lo, s0
	s_waitcnt lgkmcnt(0)
	s_barrier
	buffer_gl0_inv
	ds_read2_b64 v[29:32], v59 offset1:100
	v_add_nc_u32_e32 v33, 0x400, v59
	v_add_nc_u32_e32 v28, 0x800, v59
	ds_read_b64 v[41:42], v59 offset:4800
	ds_read2_b64 v[33:36], v33 offset0:72 offset1:172
	ds_read2_b64 v[37:40], v28 offset0:144 offset1:244
	s_waitcnt lgkmcnt(0)
	s_barrier
	buffer_gl0_inv
	v_mul_f32_e32 v43, v9, v32
	v_mul_f32_e32 v9, v9, v31
	;; [unrolled: 1-line block ×4, first 2 shown]
	v_fmac_f32_e32 v43, v8, v31
	v_fma_f32 v8, v8, v32, -v9
	v_mul_f32_e32 v9, v11, v34
	v_mul_f32_e32 v11, v11, v33
	;; [unrolled: 1-line block ×8, first 2 shown]
	v_fmac_f32_e32 v44, v2, v41
	v_fma_f32 v2, v2, v42, -v3
	v_fmac_f32_e32 v9, v10, v33
	v_fma_f32 v3, v10, v34, -v11
	;; [unrolled: 2-line block ×5, first 2 shown]
	v_add_f32_e32 v1, v43, v44
	v_add_f32_e32 v6, v8, v2
	v_sub_f32_e32 v2, v8, v2
	v_add_f32_e32 v8, v9, v45
	v_add_f32_e32 v10, v3, v0
	v_sub_f32_e32 v7, v43, v44
	v_sub_f32_e32 v9, v9, v45
	;; [unrolled: 1-line block ×3, first 2 shown]
	v_add_f32_e32 v3, v31, v32
	v_add_f32_e32 v11, v4, v5
	v_sub_f32_e32 v31, v32, v31
	v_sub_f32_e32 v4, v5, v4
	v_add_f32_e32 v5, v8, v1
	v_add_f32_e32 v32, v10, v6
	v_sub_f32_e32 v33, v8, v1
	v_sub_f32_e32 v34, v10, v6
	;; [unrolled: 1-line block ×6, first 2 shown]
	v_add_f32_e32 v1, v31, v9
	v_add_f32_e32 v36, v4, v0
	v_sub_f32_e32 v37, v31, v9
	v_sub_f32_e32 v38, v4, v0
	;; [unrolled: 1-line block ×3, first 2 shown]
	v_add_f32_e32 v3, v3, v5
	v_add_f32_e32 v5, v11, v32
	v_sub_f32_e32 v11, v0, v2
	v_sub_f32_e32 v31, v7, v31
	;; [unrolled: 1-line block ×3, first 2 shown]
	v_add_f32_e32 v7, v1, v7
	v_add_f32_e32 v2, v36, v2
	;; [unrolled: 1-line block ×4, first 2 shown]
	v_mul_f32_e32 v29, 0x3f4a47b2, v35
	v_mul_f32_e32 v6, 0x3f4a47b2, v6
	;; [unrolled: 1-line block ×8, first 2 shown]
	v_fmamk_f32 v3, v3, 0xbf955555, v0
	v_fmamk_f32 v5, v5, 0xbf955555, v1
	;; [unrolled: 1-line block ×4, first 2 shown]
	v_fma_f32 v30, 0x3f3bfb3b, v33, -v30
	v_fma_f32 v32, 0x3f3bfb3b, v34, -v32
	;; [unrolled: 1-line block ×4, first 2 shown]
	v_fmamk_f32 v33, v31, 0xbeae86e6, v35
	v_fmamk_f32 v34, v4, 0xbeae86e6, v36
	v_fma_f32 v9, 0xbf5ff5aa, v9, -v35
	v_fma_f32 v11, 0xbf5ff5aa, v11, -v36
	;; [unrolled: 1-line block ×4, first 2 shown]
	v_add_f32_e32 v36, v8, v3
	v_add_f32_e32 v37, v10, v5
	;; [unrolled: 1-line block ×6, first 2 shown]
	v_fmac_f32_e32 v33, 0xbee1c552, v7
	v_fmac_f32_e32 v34, 0xbee1c552, v2
	;; [unrolled: 1-line block ×6, first 2 shown]
	v_add_f32_e32 v2, v34, v36
	v_sub_f32_e32 v3, v37, v33
	v_add_f32_e32 v4, v35, v29
	v_sub_f32_e32 v5, v30, v31
	v_sub_f32_e32 v6, v8, v11
	v_add_f32_e32 v7, v9, v10
	v_add_f32_e32 v8, v11, v8
	v_sub_f32_e32 v9, v10, v9
	v_sub_f32_e32 v10, v29, v35
	v_add_f32_e32 v11, v31, v30
	v_sub_f32_e32 v52, v36, v34
	v_add_f32_e32 v53, v33, v37
	ds_write2_b64 v61, v[0:1], v[2:3] offset1:10
	ds_write2_b64 v61, v[4:5], v[6:7] offset0:20 offset1:30
	ds_write2_b64 v61, v[8:9], v[10:11] offset0:40 offset1:50
	ds_write_b64 v61, v[52:53] offset:480
	s_waitcnt lgkmcnt(0)
	s_barrier
	buffer_gl0_inv
	s_and_saveexec_b32 s0, vcc_lo
	s_cbranch_execz .LBB0_19
; %bb.18:
	v_add_nc_u32_e32 v29, 0x1000, v59
	ds_read2_b64 v[0:3], v59 offset1:70
	ds_read2_b64 v[4:7], v59 offset0:140 offset1:210
	ds_read2_b64 v[8:11], v28 offset0:24 offset1:94
	;; [unrolled: 1-line block ×4, first 2 shown]
.LBB0_19:
	s_or_b32 exec_lo, exec_lo, s0
	s_and_saveexec_b32 s0, vcc_lo
	s_cbranch_execz .LBB0_21
; %bb.20:
	s_waitcnt lgkmcnt(2)
	v_mul_f32_e32 v28, v15, v8
	s_waitcnt lgkmcnt(1)
	v_mul_f32_e32 v29, v27, v52
	v_mul_f32_e32 v30, v19, v4
	s_waitcnt lgkmcnt(0)
	v_mul_f32_e32 v31, v23, v48
	v_mul_f32_e32 v19, v19, v5
	v_fma_f32 v28, v14, v9, -v28
	v_fma_f32 v29, v26, v53, -v29
	v_mul_f32_e32 v23, v23, v49
	v_fma_f32 v5, v18, v5, -v30
	v_fma_f32 v30, v22, v49, -v31
	v_mul_f32_e32 v9, v15, v9
	v_add_f32_e32 v31, v29, v28
	v_fmac_f32_e32 v23, v22, v48
	v_mul_f32_e32 v15, v27, v53
	v_mul_f32_e32 v32, v25, v11
	v_fmac_f32_e32 v9, v14, v8
	v_fma_f32 v22, -0.5, v31, v1
	v_mul_f32_e32 v31, v13, v7
	v_mul_f32_e32 v14, v58, v51
	v_fmac_f32_e32 v15, v26, v52
	v_fmac_f32_e32 v32, v24, v10
	v_mul_f32_e32 v26, v21, v55
	v_fmac_f32_e32 v31, v12, v6
	v_mul_f32_e32 v8, v25, v10
	;; [unrolled: 2-line block ×3, first 2 shown]
	v_mul_f32_e32 v21, v17, v3
	v_fmac_f32_e32 v26, v20, v54
	v_fma_f32 v8, v24, v11, -v8
	v_mul_f32_e32 v11, v17, v2
	v_fma_f32 v10, v20, v55, -v10
	v_fmac_f32_e32 v21, v16, v2
	v_mul_f32_e32 v2, v13, v6
	v_mul_f32_e32 v6, v58, v50
	v_add_f32_e32 v40, v31, v14
	v_add_f32_e32 v13, v32, v26
	v_sub_f32_e32 v35, v8, v10
	v_fma_f32 v7, v12, v7, -v2
	v_fma_f32 v12, v57, v51, -v6
	v_fma_f32 v40, -0.5, v40, v21
	v_fmac_f32_e32 v19, v18, v4
	v_sub_f32_e32 v4, v5, v28
	v_sub_f32_e32 v18, v30, v29
	v_fma_f32 v3, v16, v3, -v11
	v_add_f32_e32 v11, v8, v10
	v_fma_f32 v13, -0.5, v13, v21
	v_sub_f32_e32 v16, v7, v12
	v_add_f32_e32 v38, v7, v12
	v_fmamk_f32 v47, v35, 0xbf737871, v40
	v_fmac_f32_e32 v40, 0x3f737871, v35
	v_sub_f32_e32 v27, v19, v23
	v_fma_f32 v11, -0.5, v11, v3
	v_sub_f32_e32 v17, v7, v8
	v_sub_f32_e32 v20, v12, v10
	v_fmamk_f32 v34, v16, 0x3f737871, v13
	v_add_f32_e32 v18, v18, v4
	v_add_f32_e32 v4, v30, v5
	v_fma_f32 v38, -0.5, v38, v3
	v_fmac_f32_e32 v47, 0x3f167918, v16
	v_fmac_f32_e32 v40, 0xbf167918, v16
	;; [unrolled: 1-line block ×3, first 2 shown]
	v_add_f32_e32 v16, v15, v9
	v_add_f32_e32 v3, v7, v3
	;; [unrolled: 1-line block ×3, first 2 shown]
	v_fmamk_f32 v20, v27, 0xbf737871, v22
	v_sub_f32_e32 v36, v9, v15
	v_fma_f32 v42, -0.5, v4, v1
	v_sub_f32_e32 v43, v8, v7
	v_fmac_f32_e32 v22, 0x3f737871, v27
	v_add_f32_e32 v1, v5, v1
	v_fma_f32 v7, -0.5, v16, v0
	v_add_f32_e32 v3, v8, v3
	v_sub_f32_e32 v8, v19, v9
	v_sub_f32_e32 v16, v23, v15
	;; [unrolled: 1-line block ×3, first 2 shown]
	v_fmac_f32_e32 v20, 0xbf167918, v36
	v_fmac_f32_e32 v22, 0x3f167918, v36
	v_add_f32_e32 v1, v28, v1
	v_add_f32_e32 v3, v10, v3
	;; [unrolled: 1-line block ×4, first 2 shown]
	v_sub_f32_e32 v25, v32, v26
	v_fmamk_f32 v24, v6, 0xbf737871, v11
	v_fmac_f32_e32 v20, 0x3e9e377a, v18
	v_sub_f32_e32 v39, v28, v5
	v_sub_f32_e32 v41, v29, v30
	;; [unrolled: 1-line block ×3, first 2 shown]
	v_fmamk_f32 v48, v36, 0x3f737871, v42
	v_fmac_f32_e32 v42, 0xbf737871, v36
	v_fmac_f32_e32 v11, 0x3f737871, v6
	;; [unrolled: 1-line block ×3, first 2 shown]
	v_sub_f32_e32 v18, v28, v29
	v_add_f32_e32 v1, v29, v1
	v_add_f32_e32 v28, v12, v3
	v_fma_f32 v29, -0.5, v8, v0
	v_sub_f32_e32 v3, v9, v19
	v_sub_f32_e32 v12, v15, v23
	v_fmamk_f32 v45, v25, 0x3f737871, v38
	v_fmac_f32_e32 v38, 0xbf737871, v25
	v_sub_f32_e32 v2, v31, v32
	v_sub_f32_e32 v33, v14, v26
	v_fmac_f32_e32 v24, 0xbf167918, v25
	v_fmac_f32_e32 v48, 0xbf167918, v27
	;; [unrolled: 1-line block ×4, first 2 shown]
	v_sub_f32_e32 v5, v5, v30
	v_add_f32_e32 v27, v30, v1
	v_fmamk_f32 v30, v18, 0xbf737871, v29
	v_add_f32_e32 v3, v12, v3
	v_fmac_f32_e32 v29, 0x3f737871, v18
	v_add_f32_e32 v0, v19, v0
	v_add_f32_e32 v12, v31, v21
	v_sub_f32_e32 v4, v32, v31
	v_sub_f32_e32 v46, v26, v14
	v_add_f32_e32 v43, v43, v44
	v_fmac_f32_e32 v45, 0xbf167918, v6
	v_fmac_f32_e32 v38, 0x3f167918, v6
	v_add_f32_e32 v33, v2, v33
	v_fmac_f32_e32 v34, 0x3f167918, v35
	v_fmac_f32_e32 v24, 0x3e9e377a, v17
	;; [unrolled: 1-line block ×4, first 2 shown]
	v_fmamk_f32 v25, v5, 0x3f737871, v7
	v_fmac_f32_e32 v30, 0x3f167918, v5
	v_fmac_f32_e32 v29, 0xbf167918, v5
	v_add_f32_e32 v0, v9, v0
	v_add_f32_e32 v9, v32, v12
	v_fmac_f32_e32 v7, 0xbf737871, v5
	v_add_f32_e32 v4, v4, v46
	v_fmac_f32_e32 v45, 0x3e9e377a, v43
	v_fmac_f32_e32 v38, 0x3e9e377a, v43
	;; [unrolled: 1-line block ×3, first 2 shown]
	v_mul_f32_e32 v37, 0xbf4f1bbd, v24
	v_fmac_f32_e32 v13, 0x3e9e377a, v33
	v_mul_f32_e32 v17, 0x3f4f1bbd, v11
	v_fmac_f32_e32 v30, 0x3e9e377a, v3
	v_fmac_f32_e32 v29, 0x3e9e377a, v3
	v_add_f32_e32 v0, v15, v0
	v_add_f32_e32 v3, v26, v9
	v_fmac_f32_e32 v7, 0xbf167918, v18
	v_mul_f32_e32 v26, 0xbf167918, v11
	v_add_f32_e32 v39, v41, v39
	v_fmac_f32_e32 v47, 0x3e9e377a, v4
	v_mul_f32_e32 v41, 0xbe9e377a, v45
	v_fmac_f32_e32 v40, 0x3e9e377a, v4
	v_mul_f32_e32 v43, 0x3e9e377a, v38
	v_mul_f32_e32 v33, 0xbf737871, v45
	;; [unrolled: 1-line block ×3, first 2 shown]
	v_fmac_f32_e32 v25, 0x3f167918, v18
	v_mul_f32_e32 v24, 0xbf167918, v24
	v_fmac_f32_e32 v37, 0x3f167918, v34
	v_fmac_f32_e32 v17, 0x3f167918, v13
	v_add_f32_e32 v0, v23, v0
	v_add_f32_e32 v15, v14, v3
	v_fmac_f32_e32 v7, 0x3e9e377a, v16
	v_fmac_f32_e32 v26, 0x3f4f1bbd, v13
	;; [unrolled: 1-line block ×10, first 2 shown]
	v_sub_f32_e32 v2, v20, v37
	v_sub_f32_e32 v8, v22, v17
	v_add_f32_e32 v12, v20, v37
	v_add_f32_e32 v18, v22, v17
	;; [unrolled: 1-line block ×5, first 2 shown]
	v_sub_f32_e32 v9, v0, v15
	v_add_f32_e32 v14, v48, v41
	v_add_f32_e32 v16, v42, v43
	;; [unrolled: 1-line block ×4, first 2 shown]
	v_sub_f32_e32 v10, v27, v28
	v_add_f32_e32 v11, v25, v24
	v_add_nc_u32_e32 v0, 0x800, v59
	v_sub_f32_e32 v6, v42, v43
	v_sub_f32_e32 v5, v29, v21
	;; [unrolled: 1-line block ×6, first 2 shown]
	v_add_nc_u32_e32 v21, 0x1000, v59
	ds_write2_b64 v59, v[19:20], v[17:18] offset1:70
	ds_write2_b64 v59, v[15:16], v[13:14] offset0:140 offset1:210
	ds_write2_b64 v0, v[11:12], v[9:10] offset0:24 offset1:94
	;; [unrolled: 1-line block ×4, first 2 shown]
.LBB0_21:
	s_or_b32 exec_lo, exec_lo, s0
	s_waitcnt lgkmcnt(0)
	s_barrier
	buffer_gl0_inv
	s_and_b32 exec_lo, exec_lo, vcc_lo
	s_cbranch_execz .LBB0_23
; %bb.22:
	v_add_co_u32 v2, s0, s14, v59
	v_add_co_ci_u32_e64 v3, null, s15, 0, s0
	s_clause 0x3
	global_load_dwordx2 v[16:17], v59, s[14:15]
	global_load_dwordx2 v[18:19], v59, s[14:15] offset:560
	global_load_dwordx2 v[20:21], v59, s[14:15] offset:1120
	;; [unrolled: 1-line block ×3, first 2 shown]
	v_add_co_u32 v0, vcc_lo, 0x800, v2
	v_add_co_ci_u32_e32 v1, vcc_lo, 0, v3, vcc_lo
	v_add_co_u32 v2, vcc_lo, 0x1000, v2
	v_add_co_ci_u32_e32 v3, vcc_lo, 0, v3, vcc_lo
	s_clause 0x5
	global_load_dwordx2 v[24:25], v[0:1], off offset:192
	global_load_dwordx2 v[26:27], v[0:1], off offset:752
	;; [unrolled: 1-line block ×6, first 2 shown]
	v_mad_u64_u32 v[4:5], null, s6, v56, 0
	v_mad_u64_u32 v[6:7], null, s4, v60, 0
	ds_read_b64 v[36:37], v59
	ds_read_b64 v[38:39], v59 offset:5040
	v_add_nc_u32_e32 v12, 0xc00, v59
	s_mov_b32 s0, 0xe434a9b1
	v_mov_b32_e32 v0, v5
	s_mov_b32 s1, 0x3f5767dc
	v_mov_b32_e32 v1, v7
	ds_read2_b64 v[12:15], v12 offset0:106 offset1:176
	s_mul_i32 s2, s5, 0x230
	s_mul_hi_u32 s3, s4, 0x230
	s_mulk_i32 s4, 0x230
	v_mad_u64_u32 v[7:8], null, s7, v56, v[0:1]
	v_mad_u64_u32 v[8:9], null, s5, v60, v[1:2]
	ds_read2_b64 v[0:3], v59 offset0:70 offset1:140
	v_add_nc_u32_e32 v9, 0x800, v59
	s_add_i32 s3, s3, s2
	v_mov_b32_e32 v5, v7
	v_mov_b32_e32 v7, v8
	v_add_nc_u32_e32 v8, 0x400, v59
	v_lshlrev_b64 v[4:5], 3, v[4:5]
	v_lshlrev_b64 v[6:7], 3, v[6:7]
	v_add_co_u32 v4, vcc_lo, s12, v4
	v_add_co_ci_u32_e32 v5, vcc_lo, s13, v5, vcc_lo
	v_add_co_u32 v40, vcc_lo, v4, v6
	v_add_co_ci_u32_e32 v41, vcc_lo, v5, v7, vcc_lo
	ds_read2_b64 v[4:7], v8 offset0:82 offset1:152
	ds_read2_b64 v[8:11], v9 offset0:94 offset1:164
	v_add_co_u32 v42, vcc_lo, v40, s4
	v_add_co_ci_u32_e32 v43, vcc_lo, s3, v41, vcc_lo
	v_add_co_u32 v44, vcc_lo, v42, s4
	v_add_co_ci_u32_e32 v45, vcc_lo, s3, v43, vcc_lo
	;; [unrolled: 2-line block ×4, first 2 shown]
	s_waitcnt vmcnt(9) lgkmcnt(5)
	v_mul_f32_e32 v50, v37, v17
	s_waitcnt vmcnt(8) lgkmcnt(2)
	v_mul_f32_e32 v51, v1, v19
	s_waitcnt vmcnt(7)
	v_mul_f32_e32 v52, v3, v21
	s_waitcnt vmcnt(6) lgkmcnt(1)
	v_mul_f32_e32 v53, v5, v23
	v_mul_f32_e32 v17, v36, v17
	v_mul_f32_e32 v19, v0, v19
	v_fmac_f32_e32 v50, v36, v16
	v_mul_f32_e32 v23, v4, v23
	v_fmac_f32_e32 v51, v0, v18
	v_fmac_f32_e32 v52, v2, v20
	v_mul_f32_e32 v21, v2, v21
	v_fmac_f32_e32 v53, v4, v22
	v_fma_f32 v16, v16, v37, -v17
	v_fma_f32 v17, v18, v1, -v19
	v_cvt_f64_f32_e32 v[0:1], v50
	s_waitcnt vmcnt(5)
	v_mul_f32_e32 v50, v7, v25
	v_mul_f32_e32 v25, v6, v25
	v_fma_f32 v36, v22, v5, -v23
	v_cvt_f64_f32_e32 v[4:5], v51
	s_waitcnt vmcnt(4) lgkmcnt(0)
	v_mul_f32_e32 v51, v9, v27
	v_mul_f32_e32 v27, v8, v27
	v_cvt_f64_f32_e32 v[18:19], v52
	s_waitcnt vmcnt(3)
	v_mul_f32_e32 v52, v11, v29
	v_mul_f32_e32 v29, v10, v29
	v_fma_f32 v20, v20, v3, -v21
	v_cvt_f64_f32_e32 v[22:23], v53
	s_waitcnt vmcnt(2)
	v_mul_f32_e32 v53, v13, v31
	v_mul_f32_e32 v31, v12, v31
	s_waitcnt vmcnt(1)
	v_mul_f32_e32 v54, v15, v33
	v_mul_f32_e32 v33, v14, v33
	;; [unrolled: 3-line block ×3, first 2 shown]
	v_fmac_f32_e32 v50, v6, v24
	v_fma_f32 v24, v24, v7, -v25
	v_cvt_f64_f32_e32 v[2:3], v16
	v_fmac_f32_e32 v51, v8, v26
	v_fma_f32 v25, v26, v9, -v27
	v_cvt_f64_f32_e32 v[16:17], v17
	;; [unrolled: 3-line block ×4, first 2 shown]
	v_fmac_f32_e32 v54, v14, v32
	v_fma_f32 v32, v32, v15, -v33
	v_fmac_f32_e32 v55, v38, v34
	v_fma_f32 v38, v34, v39, -v35
	v_cvt_f64_f32_e32 v[6:7], v50
	v_cvt_f64_f32_e32 v[8:9], v24
	;; [unrolled: 1-line block ×12, first 2 shown]
	v_mul_f64 v[0:1], v[0:1], s[0:1]
	v_mul_f64 v[2:3], v[2:3], s[0:1]
	;; [unrolled: 1-line block ×8, first 2 shown]
	v_add_co_u32 v50, vcc_lo, v48, s4
	v_mul_f64 v[6:7], v[6:7], s[0:1]
	v_mul_f64 v[8:9], v[8:9], s[0:1]
	;; [unrolled: 1-line block ×12, first 2 shown]
	v_cvt_f32_f64_e32 v0, v[0:1]
	v_cvt_f32_f64_e32 v1, v[2:3]
	;; [unrolled: 1-line block ×4, first 2 shown]
	v_add_co_ci_u32_e32 v51, vcc_lo, s3, v49, vcc_lo
	v_cvt_f32_f64_e32 v4, v[18:19]
	v_cvt_f32_f64_e32 v5, v[20:21]
	;; [unrolled: 1-line block ×6, first 2 shown]
	v_add_co_u32 v52, vcc_lo, v50, s4
	v_cvt_f32_f64_e32 v8, v[10:11]
	v_cvt_f32_f64_e32 v9, v[12:13]
	;; [unrolled: 1-line block ×4, first 2 shown]
	v_add_co_ci_u32_e32 v53, vcc_lo, s3, v51, vcc_lo
	v_cvt_f32_f64_e32 v12, v[26:27]
	v_cvt_f32_f64_e32 v13, v[28:29]
	;; [unrolled: 1-line block ×6, first 2 shown]
	v_add_co_u32 v20, vcc_lo, v52, s4
	v_add_co_ci_u32_e32 v21, vcc_lo, s3, v53, vcc_lo
	v_add_co_u32 v22, vcc_lo, v20, s4
	v_add_co_ci_u32_e32 v23, vcc_lo, s3, v21, vcc_lo
	;; [unrolled: 2-line block ×3, first 2 shown]
	global_store_dwordx2 v[40:41], v[0:1], off
	global_store_dwordx2 v[42:43], v[2:3], off
	;; [unrolled: 1-line block ×10, first 2 shown]
.LBB0_23:
	s_endpgm
	.section	.rodata,"a",@progbits
	.p2align	6, 0x0
	.amdhsa_kernel bluestein_single_fwd_len700_dim1_sp_op_CI_CI
		.amdhsa_group_segment_fixed_size 5600
		.amdhsa_private_segment_fixed_size 0
		.amdhsa_kernarg_size 104
		.amdhsa_user_sgpr_count 6
		.amdhsa_user_sgpr_private_segment_buffer 1
		.amdhsa_user_sgpr_dispatch_ptr 0
		.amdhsa_user_sgpr_queue_ptr 0
		.amdhsa_user_sgpr_kernarg_segment_ptr 1
		.amdhsa_user_sgpr_dispatch_id 0
		.amdhsa_user_sgpr_flat_scratch_init 0
		.amdhsa_user_sgpr_private_segment_size 0
		.amdhsa_wavefront_size32 1
		.amdhsa_uses_dynamic_stack 0
		.amdhsa_system_sgpr_private_segment_wavefront_offset 0
		.amdhsa_system_sgpr_workgroup_id_x 1
		.amdhsa_system_sgpr_workgroup_id_y 0
		.amdhsa_system_sgpr_workgroup_id_z 0
		.amdhsa_system_sgpr_workgroup_info 0
		.amdhsa_system_vgpr_workitem_id 0
		.amdhsa_next_free_vgpr 104
		.amdhsa_next_free_sgpr 16
		.amdhsa_reserve_vcc 1
		.amdhsa_reserve_flat_scratch 0
		.amdhsa_float_round_mode_32 0
		.amdhsa_float_round_mode_16_64 0
		.amdhsa_float_denorm_mode_32 3
		.amdhsa_float_denorm_mode_16_64 3
		.amdhsa_dx10_clamp 1
		.amdhsa_ieee_mode 1
		.amdhsa_fp16_overflow 0
		.amdhsa_workgroup_processor_mode 1
		.amdhsa_memory_ordered 1
		.amdhsa_forward_progress 0
		.amdhsa_shared_vgpr_count 0
		.amdhsa_exception_fp_ieee_invalid_op 0
		.amdhsa_exception_fp_denorm_src 0
		.amdhsa_exception_fp_ieee_div_zero 0
		.amdhsa_exception_fp_ieee_overflow 0
		.amdhsa_exception_fp_ieee_underflow 0
		.amdhsa_exception_fp_ieee_inexact 0
		.amdhsa_exception_int_div_zero 0
	.end_amdhsa_kernel
	.text
.Lfunc_end0:
	.size	bluestein_single_fwd_len700_dim1_sp_op_CI_CI, .Lfunc_end0-bluestein_single_fwd_len700_dim1_sp_op_CI_CI
                                        ; -- End function
	.section	.AMDGPU.csdata,"",@progbits
; Kernel info:
; codeLenInByte = 8924
; NumSgprs: 18
; NumVgprs: 104
; ScratchSize: 0
; MemoryBound: 0
; FloatMode: 240
; IeeeMode: 1
; LDSByteSize: 5600 bytes/workgroup (compile time only)
; SGPRBlocks: 2
; VGPRBlocks: 12
; NumSGPRsForWavesPerEU: 18
; NumVGPRsForWavesPerEU: 104
; Occupancy: 9
; WaveLimiterHint : 1
; COMPUTE_PGM_RSRC2:SCRATCH_EN: 0
; COMPUTE_PGM_RSRC2:USER_SGPR: 6
; COMPUTE_PGM_RSRC2:TRAP_HANDLER: 0
; COMPUTE_PGM_RSRC2:TGID_X_EN: 1
; COMPUTE_PGM_RSRC2:TGID_Y_EN: 0
; COMPUTE_PGM_RSRC2:TGID_Z_EN: 0
; COMPUTE_PGM_RSRC2:TIDIG_COMP_CNT: 0
	.text
	.p2alignl 6, 3214868480
	.fill 48, 4, 3214868480
	.type	__hip_cuid_428cdef2657f5930,@object ; @__hip_cuid_428cdef2657f5930
	.section	.bss,"aw",@nobits
	.globl	__hip_cuid_428cdef2657f5930
__hip_cuid_428cdef2657f5930:
	.byte	0                               ; 0x0
	.size	__hip_cuid_428cdef2657f5930, 1

	.ident	"AMD clang version 19.0.0git (https://github.com/RadeonOpenCompute/llvm-project roc-6.4.0 25133 c7fe45cf4b819c5991fe208aaa96edf142730f1d)"
	.section	".note.GNU-stack","",@progbits
	.addrsig
	.addrsig_sym __hip_cuid_428cdef2657f5930
	.amdgpu_metadata
---
amdhsa.kernels:
  - .args:
      - .actual_access:  read_only
        .address_space:  global
        .offset:         0
        .size:           8
        .value_kind:     global_buffer
      - .actual_access:  read_only
        .address_space:  global
        .offset:         8
        .size:           8
        .value_kind:     global_buffer
      - .actual_access:  read_only
        .address_space:  global
        .offset:         16
        .size:           8
        .value_kind:     global_buffer
      - .actual_access:  read_only
        .address_space:  global
        .offset:         24
        .size:           8
        .value_kind:     global_buffer
      - .actual_access:  read_only
        .address_space:  global
        .offset:         32
        .size:           8
        .value_kind:     global_buffer
      - .offset:         40
        .size:           8
        .value_kind:     by_value
      - .address_space:  global
        .offset:         48
        .size:           8
        .value_kind:     global_buffer
      - .address_space:  global
        .offset:         56
        .size:           8
        .value_kind:     global_buffer
      - .address_space:  global
        .offset:         64
        .size:           8
        .value_kind:     global_buffer
      - .address_space:  global
        .offset:         72
        .size:           8
        .value_kind:     global_buffer
      - .offset:         80
        .size:           4
        .value_kind:     by_value
      - .address_space:  global
        .offset:         88
        .size:           8
        .value_kind:     global_buffer
      - .address_space:  global
        .offset:         96
        .size:           8
        .value_kind:     global_buffer
    .group_segment_fixed_size: 5600
    .kernarg_segment_align: 8
    .kernarg_segment_size: 104
    .language:       OpenCL C
    .language_version:
      - 2
      - 0
    .max_flat_workgroup_size: 100
    .name:           bluestein_single_fwd_len700_dim1_sp_op_CI_CI
    .private_segment_fixed_size: 0
    .sgpr_count:     18
    .sgpr_spill_count: 0
    .symbol:         bluestein_single_fwd_len700_dim1_sp_op_CI_CI.kd
    .uniform_work_group_size: 1
    .uses_dynamic_stack: false
    .vgpr_count:     104
    .vgpr_spill_count: 0
    .wavefront_size: 32
    .workgroup_processor_mode: 1
amdhsa.target:   amdgcn-amd-amdhsa--gfx1030
amdhsa.version:
  - 1
  - 2
...

	.end_amdgpu_metadata
